;; amdgpu-corpus repo=ROCm/rocFFT kind=compiled arch=gfx906 opt=O3
	.text
	.amdgcn_target "amdgcn-amd-amdhsa--gfx906"
	.amdhsa_code_object_version 6
	.protected	fft_rtc_back_len1536_factors_16_16_6_wgs_256_tpt_256_halfLds_half_ip_CI_sbrr_dirReg ; -- Begin function fft_rtc_back_len1536_factors_16_16_6_wgs_256_tpt_256_halfLds_half_ip_CI_sbrr_dirReg
	.globl	fft_rtc_back_len1536_factors_16_16_6_wgs_256_tpt_256_halfLds_half_ip_CI_sbrr_dirReg
	.p2align	8
	.type	fft_rtc_back_len1536_factors_16_16_6_wgs_256_tpt_256_halfLds_half_ip_CI_sbrr_dirReg,@function
fft_rtc_back_len1536_factors_16_16_6_wgs_256_tpt_256_halfLds_half_ip_CI_sbrr_dirReg: ; @fft_rtc_back_len1536_factors_16_16_6_wgs_256_tpt_256_halfLds_half_ip_CI_sbrr_dirReg
; %bb.0:
	s_load_dwordx2 s[14:15], s[4:5], 0x18
	s_load_dwordx4 s[8:11], s[4:5], 0x0
	s_load_dwordx2 s[12:13], s[4:5], 0x50
	v_mov_b32_e32 v3, 0
	v_mov_b32_e32 v1, 0
	s_waitcnt lgkmcnt(0)
	s_load_dwordx2 s[2:3], s[14:15], 0x0
	v_cmp_lt_u64_e64 s[0:1], s[10:11], 2
	v_mov_b32_e32 v5, s6
	v_mov_b32_e32 v6, v3
	s_and_b64 vcc, exec, s[0:1]
	v_mov_b32_e32 v2, 0
	s_cbranch_vccnz .LBB0_8
; %bb.1:
	s_load_dwordx2 s[0:1], s[4:5], 0x10
	s_add_u32 s6, s14, 8
	s_addc_u32 s7, s15, 0
	v_mov_b32_e32 v1, 0
	v_mov_b32_e32 v2, 0
	s_waitcnt lgkmcnt(0)
	s_add_u32 s16, s0, 8
	s_addc_u32 s17, s1, 0
	s_mov_b64 s[18:19], 1
.LBB0_2:                                ; =>This Inner Loop Header: Depth=1
	s_load_dwordx2 s[20:21], s[16:17], 0x0
                                        ; implicit-def: $vgpr7_vgpr8
	s_waitcnt lgkmcnt(0)
	v_or_b32_e32 v4, s21, v6
	v_cmp_ne_u64_e32 vcc, 0, v[3:4]
	s_and_saveexec_b64 s[0:1], vcc
	s_xor_b64 s[22:23], exec, s[0:1]
	s_cbranch_execz .LBB0_4
; %bb.3:                                ;   in Loop: Header=BB0_2 Depth=1
	v_cvt_f32_u32_e32 v4, s20
	v_cvt_f32_u32_e32 v7, s21
	s_sub_u32 s0, 0, s20
	s_subb_u32 s1, 0, s21
	v_mac_f32_e32 v4, 0x4f800000, v7
	v_rcp_f32_e32 v4, v4
	v_mul_f32_e32 v4, 0x5f7ffffc, v4
	v_mul_f32_e32 v7, 0x2f800000, v4
	v_trunc_f32_e32 v7, v7
	v_mac_f32_e32 v4, 0xcf800000, v7
	v_cvt_u32_f32_e32 v7, v7
	v_cvt_u32_f32_e32 v4, v4
	v_mul_lo_u32 v8, s0, v7
	v_mul_hi_u32 v9, s0, v4
	v_mul_lo_u32 v11, s1, v4
	v_mul_lo_u32 v10, s0, v4
	v_add_u32_e32 v8, v9, v8
	v_add_u32_e32 v8, v8, v11
	v_mul_hi_u32 v9, v4, v10
	v_mul_lo_u32 v11, v4, v8
	v_mul_hi_u32 v13, v4, v8
	v_mul_hi_u32 v12, v7, v10
	v_mul_lo_u32 v10, v7, v10
	v_mul_hi_u32 v14, v7, v8
	v_add_co_u32_e32 v9, vcc, v9, v11
	v_addc_co_u32_e32 v11, vcc, 0, v13, vcc
	v_mul_lo_u32 v8, v7, v8
	v_add_co_u32_e32 v9, vcc, v9, v10
	v_addc_co_u32_e32 v9, vcc, v11, v12, vcc
	v_addc_co_u32_e32 v10, vcc, 0, v14, vcc
	v_add_co_u32_e32 v8, vcc, v9, v8
	v_addc_co_u32_e32 v9, vcc, 0, v10, vcc
	v_add_co_u32_e32 v4, vcc, v4, v8
	v_addc_co_u32_e32 v7, vcc, v7, v9, vcc
	v_mul_lo_u32 v8, s0, v7
	v_mul_hi_u32 v9, s0, v4
	v_mul_lo_u32 v10, s1, v4
	v_mul_lo_u32 v11, s0, v4
	v_add_u32_e32 v8, v9, v8
	v_add_u32_e32 v8, v8, v10
	v_mul_lo_u32 v12, v4, v8
	v_mul_hi_u32 v13, v4, v11
	v_mul_hi_u32 v14, v4, v8
	;; [unrolled: 1-line block ×3, first 2 shown]
	v_mul_lo_u32 v11, v7, v11
	v_mul_hi_u32 v9, v7, v8
	v_add_co_u32_e32 v12, vcc, v13, v12
	v_addc_co_u32_e32 v13, vcc, 0, v14, vcc
	v_mul_lo_u32 v8, v7, v8
	v_add_co_u32_e32 v11, vcc, v12, v11
	v_addc_co_u32_e32 v10, vcc, v13, v10, vcc
	v_addc_co_u32_e32 v9, vcc, 0, v9, vcc
	v_add_co_u32_e32 v8, vcc, v10, v8
	v_addc_co_u32_e32 v9, vcc, 0, v9, vcc
	v_add_co_u32_e32 v4, vcc, v4, v8
	v_addc_co_u32_e32 v9, vcc, v7, v9, vcc
	v_mad_u64_u32 v[7:8], s[0:1], v5, v9, 0
	v_mul_hi_u32 v10, v5, v4
	v_add_co_u32_e32 v11, vcc, v10, v7
	v_addc_co_u32_e32 v12, vcc, 0, v8, vcc
	v_mad_u64_u32 v[7:8], s[0:1], v6, v4, 0
	v_mad_u64_u32 v[9:10], s[0:1], v6, v9, 0
	v_add_co_u32_e32 v4, vcc, v11, v7
	v_addc_co_u32_e32 v4, vcc, v12, v8, vcc
	v_addc_co_u32_e32 v7, vcc, 0, v10, vcc
	v_add_co_u32_e32 v4, vcc, v4, v9
	v_addc_co_u32_e32 v9, vcc, 0, v7, vcc
	v_mul_lo_u32 v10, s21, v4
	v_mul_lo_u32 v11, s20, v9
	v_mad_u64_u32 v[7:8], s[0:1], s20, v4, 0
	v_add3_u32 v8, v8, v11, v10
	v_sub_u32_e32 v10, v6, v8
	v_mov_b32_e32 v11, s21
	v_sub_co_u32_e32 v7, vcc, v5, v7
	v_subb_co_u32_e64 v10, s[0:1], v10, v11, vcc
	v_subrev_co_u32_e64 v11, s[0:1], s20, v7
	v_subbrev_co_u32_e64 v10, s[0:1], 0, v10, s[0:1]
	v_cmp_le_u32_e64 s[0:1], s21, v10
	v_cndmask_b32_e64 v12, 0, -1, s[0:1]
	v_cmp_le_u32_e64 s[0:1], s20, v11
	v_cndmask_b32_e64 v11, 0, -1, s[0:1]
	v_cmp_eq_u32_e64 s[0:1], s21, v10
	v_cndmask_b32_e64 v10, v12, v11, s[0:1]
	v_add_co_u32_e64 v11, s[0:1], 2, v4
	v_addc_co_u32_e64 v12, s[0:1], 0, v9, s[0:1]
	v_add_co_u32_e64 v13, s[0:1], 1, v4
	v_addc_co_u32_e64 v14, s[0:1], 0, v9, s[0:1]
	v_subb_co_u32_e32 v8, vcc, v6, v8, vcc
	v_cmp_ne_u32_e64 s[0:1], 0, v10
	v_cmp_le_u32_e32 vcc, s21, v8
	v_cndmask_b32_e64 v10, v14, v12, s[0:1]
	v_cndmask_b32_e64 v12, 0, -1, vcc
	v_cmp_le_u32_e32 vcc, s20, v7
	v_cndmask_b32_e64 v7, 0, -1, vcc
	v_cmp_eq_u32_e32 vcc, s21, v8
	v_cndmask_b32_e32 v7, v12, v7, vcc
	v_cmp_ne_u32_e32 vcc, 0, v7
	v_cndmask_b32_e64 v7, v13, v11, s[0:1]
	v_cndmask_b32_e32 v8, v9, v10, vcc
	v_cndmask_b32_e32 v7, v4, v7, vcc
.LBB0_4:                                ;   in Loop: Header=BB0_2 Depth=1
	s_andn2_saveexec_b64 s[0:1], s[22:23]
	s_cbranch_execz .LBB0_6
; %bb.5:                                ;   in Loop: Header=BB0_2 Depth=1
	v_cvt_f32_u32_e32 v4, s20
	s_sub_i32 s22, 0, s20
	v_rcp_iflag_f32_e32 v4, v4
	v_mul_f32_e32 v4, 0x4f7ffffe, v4
	v_cvt_u32_f32_e32 v4, v4
	v_mul_lo_u32 v7, s22, v4
	v_mul_hi_u32 v7, v4, v7
	v_add_u32_e32 v4, v4, v7
	v_mul_hi_u32 v4, v5, v4
	v_mul_lo_u32 v7, v4, s20
	v_add_u32_e32 v8, 1, v4
	v_sub_u32_e32 v7, v5, v7
	v_subrev_u32_e32 v9, s20, v7
	v_cmp_le_u32_e32 vcc, s20, v7
	v_cndmask_b32_e32 v7, v7, v9, vcc
	v_cndmask_b32_e32 v4, v4, v8, vcc
	v_add_u32_e32 v8, 1, v4
	v_cmp_le_u32_e32 vcc, s20, v7
	v_cndmask_b32_e32 v7, v4, v8, vcc
	v_mov_b32_e32 v8, v3
.LBB0_6:                                ;   in Loop: Header=BB0_2 Depth=1
	s_or_b64 exec, exec, s[0:1]
	v_mul_lo_u32 v4, v8, s20
	v_mul_lo_u32 v11, v7, s21
	v_mad_u64_u32 v[9:10], s[0:1], v7, s20, 0
	s_load_dwordx2 s[0:1], s[6:7], 0x0
	s_add_u32 s18, s18, 1
	v_add3_u32 v4, v10, v11, v4
	v_sub_co_u32_e32 v5, vcc, v5, v9
	v_subb_co_u32_e32 v4, vcc, v6, v4, vcc
	s_waitcnt lgkmcnt(0)
	v_mul_lo_u32 v4, s0, v4
	v_mul_lo_u32 v6, s1, v5
	v_mad_u64_u32 v[1:2], s[0:1], s0, v5, v[1:2]
	s_addc_u32 s19, s19, 0
	s_add_u32 s6, s6, 8
	v_add3_u32 v2, v6, v2, v4
	v_mov_b32_e32 v4, s10
	v_mov_b32_e32 v5, s11
	s_addc_u32 s7, s7, 0
	v_cmp_ge_u64_e32 vcc, s[18:19], v[4:5]
	s_add_u32 s16, s16, 8
	s_addc_u32 s17, s17, 0
	s_cbranch_vccnz .LBB0_9
; %bb.7:                                ;   in Loop: Header=BB0_2 Depth=1
	v_mov_b32_e32 v5, v7
	v_mov_b32_e32 v6, v8
	s_branch .LBB0_2
.LBB0_8:
	v_mov_b32_e32 v8, v6
	v_mov_b32_e32 v7, v5
.LBB0_9:
	s_lshl_b64 s[0:1], s[10:11], 3
	s_add_u32 s0, s14, s0
	s_addc_u32 s1, s15, s1
	s_load_dwordx2 s[6:7], s[0:1], 0x0
	s_load_dwordx2 s[10:11], s[4:5], 0x20
	v_mov_b32_e32 v9, 0
	v_mov_b32_e32 v13, 0
	;; [unrolled: 1-line block ×3, first 2 shown]
	s_waitcnt lgkmcnt(0)
	v_mul_lo_u32 v3, s6, v8
	v_mul_lo_u32 v4, s7, v7
	v_mad_u64_u32 v[5:6], s[0:1], s6, v7, v[1:2]
	v_cmp_gt_u64_e32 vcc, s[10:11], v[7:8]
	v_mov_b32_e32 v1, 0
	v_add3_u32 v6, v4, v6, v3
	v_mov_b32_e32 v8, 0
	v_mov_b32_e32 v29, 0
	;; [unrolled: 1-line block ×13, first 2 shown]
                                        ; implicit-def: $vgpr3
                                        ; implicit-def: $vgpr23
                                        ; implicit-def: $vgpr31
                                        ; implicit-def: $vgpr17
                                        ; implicit-def: $vgpr33
                                        ; implicit-def: $vgpr21
                                        ; implicit-def: $vgpr27
                                        ; implicit-def: $vgpr15
                                        ; implicit-def: $vgpr35
                                        ; implicit-def: $vgpr24
                                        ; implicit-def: $vgpr32
                                        ; implicit-def: $vgpr18
                                        ; implicit-def: $vgpr34
                                        ; implicit-def: $vgpr22
                                        ; implicit-def: $vgpr28
                                        ; implicit-def: $vgpr16
	s_and_saveexec_b64 s[4:5], vcc
	s_cbranch_execz .LBB0_13
; %bb.10:
	s_movk_i32 s0, 0x60
	v_cmp_gt_u32_e64 s[0:1], s0, v0
	v_mov_b32_e32 v4, 0
	v_mov_b32_e32 v20, 0
	;; [unrolled: 1-line block ×16, first 2 shown]
                                        ; implicit-def: $vgpr16
                                        ; implicit-def: $vgpr28
                                        ; implicit-def: $vgpr22
                                        ; implicit-def: $vgpr34
                                        ; implicit-def: $vgpr18
                                        ; implicit-def: $vgpr32
                                        ; implicit-def: $vgpr24
                                        ; implicit-def: $vgpr35
                                        ; implicit-def: $vgpr15
                                        ; implicit-def: $vgpr27
                                        ; implicit-def: $vgpr21
                                        ; implicit-def: $vgpr33
                                        ; implicit-def: $vgpr17
                                        ; implicit-def: $vgpr31
                                        ; implicit-def: $vgpr23
                                        ; implicit-def: $vgpr3
	s_and_saveexec_b64 s[6:7], s[0:1]
	s_cbranch_execz .LBB0_12
; %bb.11:
	v_mad_u64_u32 v[1:2], s[0:1], s2, v0, 0
	v_add_u32_e32 v10, 0x60, v0
	v_mad_u64_u32 v[7:8], s[0:1], s2, v10, 0
	v_mad_u64_u32 v[2:3], s[0:1], s3, v0, v[2:3]
	v_lshlrev_b64 v[3:4], 2, v[5:6]
	v_mov_b32_e32 v9, s13
	v_add_co_u32_e64 v45, s[0:1], s12, v3
	v_mov_b32_e32 v3, v8
	v_addc_co_u32_e64 v46, s[0:1], v9, v4, s[0:1]
	v_mad_u64_u32 v[3:4], s[0:1], s3, v10, v[3:4]
	v_add_u32_e32 v11, 0xc0, v0
	v_mad_u64_u32 v[9:10], s[0:1], s2, v11, 0
	v_lshlrev_b64 v[1:2], 2, v[1:2]
	v_mov_b32_e32 v8, v3
	v_add_co_u32_e64 v1, s[0:1], v45, v1
	v_lshlrev_b64 v[3:4], 2, v[7:8]
	v_mov_b32_e32 v7, v10
	v_addc_co_u32_e64 v2, s[0:1], v46, v2, s[0:1]
	v_mad_u64_u32 v[7:8], s[0:1], s3, v11, v[7:8]
	v_add_u32_e32 v8, 0x120, v0
	v_mad_u64_u32 v[11:12], s[0:1], s2, v8, 0
	v_add_co_u32_e64 v15, s[0:1], v45, v3
	v_mov_b32_e32 v10, v7
	v_mov_b32_e32 v7, v12
	v_addc_co_u32_e64 v16, s[0:1], v46, v4, s[0:1]
	v_lshlrev_b64 v[3:4], 2, v[9:10]
	v_mad_u64_u32 v[7:8], s[0:1], s3, v8, v[7:8]
	v_or_b32_e32 v10, 0x180, v0
	v_mad_u64_u32 v[8:9], s[0:1], s2, v10, 0
	v_add_co_u32_e64 v17, s[0:1], v45, v3
	v_mov_b32_e32 v12, v7
	v_mov_b32_e32 v7, v9
	v_addc_co_u32_e64 v18, s[0:1], v46, v4, s[0:1]
	v_lshlrev_b64 v[3:4], 2, v[11:12]
	v_mad_u64_u32 v[9:10], s[0:1], s3, v10, v[7:8]
	v_add_u32_e32 v12, 0x1e0, v0
	v_mad_u64_u32 v[10:11], s[0:1], s2, v12, 0
	v_add_co_u32_e64 v19, s[0:1], v45, v3
	v_mov_b32_e32 v7, v11
	v_addc_co_u32_e64 v20, s[0:1], v46, v4, s[0:1]
	v_lshlrev_b64 v[3:4], 2, v[8:9]
	v_mad_u64_u32 v[7:8], s[0:1], s3, v12, v[7:8]
	v_add_u32_e32 v12, 0x240, v0
	v_mad_u64_u32 v[8:9], s[0:1], s2, v12, 0
	v_add_co_u32_e64 v21, s[0:1], v45, v3
	v_mov_b32_e32 v11, v7
	v_mov_b32_e32 v7, v9
	v_addc_co_u32_e64 v22, s[0:1], v46, v4, s[0:1]
	v_lshlrev_b64 v[3:4], 2, v[10:11]
	v_mad_u64_u32 v[9:10], s[0:1], s3, v12, v[7:8]
	v_add_u32_e32 v12, 0x2a0, v0
	v_mad_u64_u32 v[10:11], s[0:1], s2, v12, 0
	v_add_co_u32_e64 v23, s[0:1], v45, v3
	v_mov_b32_e32 v7, v11
	v_addc_co_u32_e64 v24, s[0:1], v46, v4, s[0:1]
	v_lshlrev_b64 v[3:4], 2, v[8:9]
	v_mad_u64_u32 v[7:8], s[0:1], s3, v12, v[7:8]
	v_or_b32_e32 v12, 0x300, v0
	v_mad_u64_u32 v[8:9], s[0:1], s2, v12, 0
	v_add_co_u32_e64 v25, s[0:1], v45, v3
	v_mov_b32_e32 v11, v7
	v_mov_b32_e32 v7, v9
	v_addc_co_u32_e64 v26, s[0:1], v46, v4, s[0:1]
	v_lshlrev_b64 v[3:4], 2, v[10:11]
	v_mad_u64_u32 v[9:10], s[0:1], s3, v12, v[7:8]
	v_add_u32_e32 v12, 0x360, v0
	v_mad_u64_u32 v[10:11], s[0:1], s2, v12, 0
	v_add_co_u32_e64 v27, s[0:1], v45, v3
	v_mov_b32_e32 v7, v11
	v_addc_co_u32_e64 v28, s[0:1], v46, v4, s[0:1]
	v_lshlrev_b64 v[3:4], 2, v[8:9]
	v_mad_u64_u32 v[7:8], s[0:1], s3, v12, v[7:8]
	v_add_u32_e32 v12, 0x3c0, v0
	v_mad_u64_u32 v[8:9], s[0:1], s2, v12, 0
	v_add_co_u32_e64 v29, s[0:1], v45, v3
	v_mov_b32_e32 v11, v7
	v_mov_b32_e32 v7, v9
	v_addc_co_u32_e64 v30, s[0:1], v46, v4, s[0:1]
	v_lshlrev_b64 v[3:4], 2, v[10:11]
	v_mad_u64_u32 v[9:10], s[0:1], s3, v12, v[7:8]
	v_add_u32_e32 v12, 0x420, v0
	v_mad_u64_u32 v[10:11], s[0:1], s2, v12, 0
	v_add_co_u32_e64 v31, s[0:1], v45, v3
	v_mov_b32_e32 v7, v11
	v_addc_co_u32_e64 v32, s[0:1], v46, v4, s[0:1]
	v_lshlrev_b64 v[3:4], 2, v[8:9]
	v_mad_u64_u32 v[7:8], s[0:1], s3, v12, v[7:8]
	v_or_b32_e32 v12, 0x480, v0
	v_mad_u64_u32 v[8:9], s[0:1], s2, v12, 0
	v_add_co_u32_e64 v33, s[0:1], v45, v3
	v_mov_b32_e32 v11, v7
	v_mov_b32_e32 v7, v9
	v_addc_co_u32_e64 v34, s[0:1], v46, v4, s[0:1]
	v_lshlrev_b64 v[3:4], 2, v[10:11]
	v_mad_u64_u32 v[9:10], s[0:1], s3, v12, v[7:8]
	v_add_u32_e32 v12, 0x4e0, v0
	v_mad_u64_u32 v[10:11], s[0:1], s2, v12, 0
	v_add_co_u32_e64 v35, s[0:1], v45, v3
	v_mov_b32_e32 v7, v11
	v_addc_co_u32_e64 v36, s[0:1], v46, v4, s[0:1]
	v_lshlrev_b64 v[3:4], 2, v[8:9]
	v_mad_u64_u32 v[7:8], s[0:1], s3, v12, v[7:8]
	v_add_u32_e32 v12, 0x540, v0
	v_mad_u64_u32 v[8:9], s[0:1], s2, v12, 0
	v_add_co_u32_e64 v37, s[0:1], v45, v3
	v_mov_b32_e32 v11, v7
	v_addc_co_u32_e64 v38, s[0:1], v46, v4, s[0:1]
	v_lshlrev_b64 v[3:4], 2, v[10:11]
	v_mov_b32_e32 v7, v9
	v_mad_u64_u32 v[9:10], s[0:1], s3, v12, v[7:8]
	v_add_co_u32_e64 v39, s[0:1], v45, v3
	v_add_u32_e32 v7, 0x5a0, v0
	v_addc_co_u32_e64 v40, s[0:1], v46, v4, s[0:1]
	v_mad_u64_u32 v[41:42], s[0:1], s2, v7, 0
	v_lshlrev_b64 v[3:4], 2, v[8:9]
	v_add_co_u32_e64 v43, s[0:1], v45, v3
	v_mov_b32_e32 v3, v42
	v_addc_co_u32_e64 v44, s[0:1], v46, v4, s[0:1]
	v_mad_u64_u32 v[3:4], s[0:1], s3, v7, v[3:4]
	global_load_dword v13, v[1:2], off
	global_load_dword v8, v[15:16], off
	;; [unrolled: 1-line block ×8, first 2 shown]
	v_mov_b32_e32 v42, v3
	v_lshlrev_b64 v[1:2], 2, v[41:42]
	v_add_co_u32_e64 v1, s[0:1], v45, v1
	v_addc_co_u32_e64 v2, s[0:1], v46, v2, s[0:1]
	global_load_dword v23, v[29:30], off
	global_load_dword v17, v[31:32], off
	global_load_dword v21, v[33:34], off
	global_load_dword v15, v[35:36], off
	global_load_dword v24, v[37:38], off
	global_load_dword v18, v[39:40], off
	global_load_dword v22, v[43:44], off
	global_load_dword v16, v[1:2], off
	s_waitcnt vmcnt(15)
	v_lshrrev_b32_e32 v1, 16, v13
	s_waitcnt vmcnt(14)
	v_lshrrev_b32_e32 v25, 16, v8
	;; [unrolled: 2-line block ×16, first 2 shown]
.LBB0_12:
	s_or_b64 exec, exec, s[6:7]
	v_mov_b32_e32 v9, v0
.LBB0_13:
	s_or_b64 exec, exec, s[4:5]
	v_sub_f16_e32 v36, v13, v23
	v_fma_f16 v37, v13, 2.0, -v36
	v_sub_f16_e32 v13, v14, v24
	v_sub_f16_e32 v21, v11, v21
	;; [unrolled: 1-line block ×3, first 2 shown]
	v_fma_f16 v33, v11, 2.0, -v21
	v_fma_f16 v11, v29, 2.0, -v24
	v_sub_f16_e32 v22, v12, v22
	v_sub_f16_e32 v29, v30, v34
	;; [unrolled: 1-line block ×8, first 2 shown]
	v_fma_f16 v14, v14, 2.0, -v13
	v_fma_f16 v12, v12, 2.0, -v22
	v_sub_f16_e32 v17, v8, v17
	v_fma_f16 v25, v25, 2.0, -v31
	v_sub_f16_e32 v18, v10, v18
	v_fma_f16 v26, v26, 2.0, -v32
	v_fma_f16 v35, v7, 2.0, -v15
	v_fma_f16 v19, v19, 2.0, -v34
	v_fma_f16 v20, v20, 2.0, -v38
	v_add_f16_e32 v7, v21, v29
	v_fma_f16 v30, v30, 2.0, -v29
	v_fma_f16 v8, v8, 2.0, -v17
	v_fma_f16 v10, v10, 2.0, -v18
	v_sub_f16_e32 v16, v4, v16
	v_sub_f16_e32 v14, v37, v14
	v_add_f16_e32 v39, v36, v23
	v_sub_f16_e32 v12, v33, v12
	v_sub_f16_e32 v41, v24, v22
	v_fma_f16 v42, v21, 2.0, -v7
	v_sub_f16_e32 v21, v25, v26
	v_add_f16_e32 v22, v17, v32
	v_sub_f16_e32 v20, v19, v20
	v_add_f16_e32 v26, v15, v38
	v_fma_f16 v4, v4, 2.0, -v16
	v_fma_f16 v37, v37, 2.0, -v14
	;; [unrolled: 1-line block ×3, first 2 shown]
	v_sub_f16_e32 v28, v11, v30
	v_fma_f16 v30, v33, 2.0, -v12
	v_sub_f16_e32 v10, v8, v10
	v_fma_f16 v27, v25, 2.0, -v21
	;; [unrolled: 2-line block ×3, first 2 shown]
	v_fma_f16 v19, v19, 2.0, -v20
	v_sub_f16_e32 v16, v34, v16
	v_fma_f16 v15, v15, 2.0, -v26
	s_mov_b32 s1, 0xb9a8
	v_fma_f16 v43, v24, 2.0, -v41
	v_fma_f16 v24, v31, 2.0, -v18
	v_sub_f16_e32 v4, v35, v4
	v_fma_f16 v29, v34, 2.0, -v16
	v_sub_f16_e32 v38, v37, v30
	s_movk_i32 s0, 0x39a8
	v_fma_f16 v30, v42, s1, v36
	v_add_f16_e32 v51, v14, v28
	v_sub_f16_e32 v31, v27, v19
	v_fma_f16 v19, v15, s1, v17
	v_add_f16_e32 v49, v10, v20
	v_fma_f16 v25, v35, 2.0, -v4
	v_fma_f16 v47, v43, s0, v30
	v_fma_f16 v14, v14, 2.0, -v51
	v_fma_f16 v30, v7, s0, v39
	v_fma_f16 v34, v29, s0, v19
	;; [unrolled: 1-line block ×3, first 2 shown]
	v_sub_f16_e32 v50, v21, v4
	v_fma_f16 v44, v10, 2.0, -v49
	v_fma_f16 v4, v26, s0, v22
	v_fma_f16 v48, v36, 2.0, -v47
	v_fma_f16 v52, v41, s0, v30
	v_fma_f16 v35, v15, s1, v19
	v_fma_f16 v45, v21, 2.0, -v50
	v_fma_f16 v36, v16, s0, v4
	v_fma_f16 v4, v16, s0, v18
	v_fma_f16 v15, v44, s1, v14
	v_fma_f16 v46, v37, 2.0, -v38
	v_fma_f16 v53, v39, 2.0, -v52
	;; [unrolled: 1-line block ×3, first 2 shown]
	v_fma_f16 v37, v26, s1, v4
	v_fma_f16 v39, v22, 2.0, -v36
	s_mov_b32 s4, 0xbb64
	v_fma_f16 v20, v45, s0, v15
	s_mov_b32 s1, 0xb61f
	v_fma_f16 v40, v18, 2.0, -v37
	v_fma_f16 v4, v32, s4, v48
	s_movk_i32 s4, 0x361f
	v_fma_f16 v15, v14, 2.0, -v20
	s_movk_i32 s5, 0x3b64
	v_fma_f16 v14, v39, s1, v53
	v_fma_f16 v8, v8, 2.0, -v10
	v_fma_f16 v22, v40, s5, v14
	v_fma_f16 v14, v34, s4, v47
	v_sub_f16_e32 v30, v8, v25
	v_fma_f16 v17, v35, s5, v14
	v_fma_f16 v14, v49, s0, v51
	v_fma_f16 v8, v8, 2.0, -v30
	v_fma_f16 v33, v24, 2.0, -v35
	v_fma_f16 v16, v50, s0, v14
	v_fma_f16 v14, v36, s5, v52
	v_sub_f16_e32 v8, v46, v8
	v_fma_f16 v19, v33, s4, v4
	v_add_f16_e32 v21, v38, v31
	v_fma_f16 v14, v37, s4, v14
	s_movk_i32 s0, 0x60
	v_fma_f16 v10, v46, 2.0, -v8
	v_fma_f16 v4, v48, 2.0, -v19
	;; [unrolled: 1-line block ×7, first 2 shown]
	v_cmp_gt_u32_e64 s[0:1], s0, v0
	v_lshl_add_u32 v38, v0, 5, 0
	s_and_saveexec_b64 s[4:5], s[0:1]
	s_cbranch_execz .LBB0_15
; %bb.14:
	s_mov_b32 s6, 0x5040100
	v_perm_b32 v46, v18, v15, s6
	v_perm_b32 v47, v4, v10, s6
	ds_write2_b32 v38, v47, v46 offset1:1
	v_perm_b32 v46, v26, v25, s6
	v_perm_b32 v47, v24, v29, s6
	ds_write2_b32 v38, v47, v46 offset0:2 offset1:3
	v_perm_b32 v46, v22, v20, s6
	v_perm_b32 v47, v19, v8, s6
	ds_write2_b32 v38, v47, v46 offset0:4 offset1:5
	;; [unrolled: 3-line block ×3, first 2 shown]
.LBB0_15:
	s_or_b64 exec, exec, s[4:5]
	v_mul_f16_e32 v47, 0x39a8, v42
	v_mul_f16_e32 v48, 0x39a8, v43
	;; [unrolled: 1-line block ×8, first 2 shown]
	v_lshl_add_u32 v7, v0, 1, 0
	s_waitcnt lgkmcnt(0)
	s_barrier
	s_and_saveexec_b64 s[4:5], s[0:1]
	s_cbranch_execz .LBB0_17
; %bb.16:
	ds_read_u16 v10, v7
	ds_read_u16 v4, v7 offset:192
	ds_read_u16 v15, v7 offset:384
	;; [unrolled: 1-line block ×15, first 2 shown]
.LBB0_17:
	s_or_b64 exec, exec, s[4:5]
	v_sub_f16_e32 v3, v1, v3
	v_fma_f16 v1, v1, 2.0, -v3
	v_fma_f16 v2, v2, 2.0, -v23
	v_sub_f16_e32 v2, v1, v2
	v_sub_f16_e32 v13, v3, v13
	v_fma_f16 v1, v1, 2.0, -v2
	v_fma_f16 v3, v3, 2.0, -v13
	;; [unrolled: 1-line block ×3, first 2 shown]
	v_sub_f16_e32 v23, v1, v11
	v_sub_f16_e32 v11, v3, v48
	;; [unrolled: 1-line block ×3, first 2 shown]
	v_add_f16_e32 v11, v13, v41
	v_fma_f16 v1, v1, 2.0, -v23
	v_sub_f16_e32 v46, v11, v46
	v_fma_f16 v11, v27, 2.0, -v31
	v_fma_f16 v3, v3, 2.0, -v47
	v_sub_f16_e32 v48, v2, v12
	v_sub_f16_e32 v12, v1, v11
	s_mov_b32 s4, 0xbb64
	v_fma_f16 v2, v2, 2.0, -v48
	v_fma_f16 v11, v1, 2.0, -v12
	v_fma_f16 v1, v33, s4, v3
	s_mov_b32 s5, 0xb61f
	v_fma_f16 v13, v13, 2.0, -v46
	v_fma_f16 v31, v32, s5, v1
	v_sub_f16_e32 v1, v2, v45
	v_sub_f16_e32 v32, v1, v44
	v_fma_f16 v1, v40, s5, v13
	v_fma_f16 v33, v39, s4, v1
	s_movk_i32 s6, 0x361f
	v_fma_f16 v41, v3, 2.0, -v31
	v_fma_f16 v3, v2, 2.0, -v32
	;; [unrolled: 1-line block ×3, first 2 shown]
	v_fma_f16 v13, v35, s6, v47
	v_fma_f16 v28, v34, s4, v13
	v_add_f16_e32 v13, v48, v43
	s_movk_i32 s4, 0x3b64
	v_sub_f16_e32 v30, v23, v30
	v_sub_f16_e32 v27, v13, v42
	v_fma_f16 v13, v37, s4, v46
	v_fma_f16 v1, v23, 2.0, -v30
	v_fma_f16 v23, v36, s5, v13
	v_fma_f16 v35, v47, 2.0, -v28
	v_fma_f16 v34, v48, 2.0, -v27
	;; [unrolled: 1-line block ×3, first 2 shown]
	s_waitcnt lgkmcnt(0)
	s_barrier
	s_and_saveexec_b64 s[4:5], s[0:1]
	s_cbranch_execz .LBB0_19
; %bb.18:
	s_mov_b32 s6, 0x5040100
	v_perm_b32 v13, v2, v3, s6
	v_perm_b32 v37, v41, v11, s6
	ds_write2_b32 v38, v37, v13 offset1:1
	v_perm_b32 v13, v36, v34, s6
	v_perm_b32 v37, v35, v1, s6
	ds_write2_b32 v38, v37, v13 offset0:2 offset1:3
	v_perm_b32 v13, v33, v32, s6
	v_perm_b32 v37, v31, v12, s6
	ds_write2_b32 v38, v37, v13 offset0:4 offset1:5
	;; [unrolled: 3-line block ×3, first 2 shown]
.LBB0_19:
	s_or_b64 exec, exec, s[4:5]
	s_waitcnt lgkmcnt(0)
	s_barrier
	s_and_saveexec_b64 s[4:5], s[0:1]
	s_cbranch_execz .LBB0_21
; %bb.20:
	ds_read_u16 v11, v7
	ds_read_u16 v41, v7 offset:192
	ds_read_u16 v3, v7 offset:384
	;; [unrolled: 1-line block ×15, first 2 shown]
.LBB0_21:
	s_or_b64 exec, exec, s[4:5]
	v_and_b32_e32 v13, 15, v0
	v_mul_u32_u24_e32 v37, 15, v13
	v_lshlrev_b32_e32 v42, 2, v37
	global_load_dwordx4 v[37:40], v42, s[8:9]
	s_mov_b32 s5, 0xb9a8
	s_movk_i32 s4, 0x39a8
	s_waitcnt vmcnt(0) lgkmcnt(14)
	v_mul_f16_sdwa v43, v41, v37 dst_sel:DWORD dst_unused:UNUSED_PAD src0_sel:DWORD src1_sel:WORD_1
	v_fma_f16 v43, v4, v37, v43
	v_mul_f16_sdwa v4, v4, v37 dst_sel:DWORD dst_unused:UNUSED_PAD src0_sel:DWORD src1_sel:WORD_1
	v_fma_f16 v41, v41, v37, -v4
	s_waitcnt lgkmcnt(13)
	v_mul_f16_sdwa v4, v3, v38 dst_sel:DWORD dst_unused:UNUSED_PAD src0_sel:DWORD src1_sel:WORD_1
	v_fma_f16 v44, v15, v38, v4
	v_mul_f16_sdwa v4, v15, v38 dst_sel:DWORD dst_unused:UNUSED_PAD src0_sel:DWORD src1_sel:WORD_1
	v_fma_f16 v38, v3, v38, -v4
	s_waitcnt lgkmcnt(12)
	;; [unrolled: 5-line block ×3, first 2 shown]
	v_mul_f16_sdwa v2, v1, v40 dst_sel:DWORD dst_unused:UNUSED_PAD src0_sel:DWORD src1_sel:WORD_1
	v_fma_f16 v18, v29, v40, v2
	v_mul_f16_sdwa v2, v29, v40 dst_sel:DWORD dst_unused:UNUSED_PAD src0_sel:DWORD src1_sel:WORD_1
	v_fma_f16 v15, v1, v40, -v2
	global_load_dwordx4 v[1:4], v42, s[8:9] offset:16
	s_waitcnt vmcnt(0) lgkmcnt(10)
	v_mul_f16_sdwa v29, v35, v1 dst_sel:DWORD dst_unused:UNUSED_PAD src0_sel:DWORD src1_sel:WORD_1
	v_fma_f16 v29, v24, v1, v29
	v_mul_f16_sdwa v24, v24, v1 dst_sel:DWORD dst_unused:UNUSED_PAD src0_sel:DWORD src1_sel:WORD_1
	v_fma_f16 v24, v35, v1, -v24
	s_waitcnt lgkmcnt(9)
	v_mul_f16_sdwa v1, v34, v2 dst_sel:DWORD dst_unused:UNUSED_PAD src0_sel:DWORD src1_sel:WORD_1
	v_fma_f16 v40, v25, v2, v1
	v_mul_f16_sdwa v1, v25, v2 dst_sel:DWORD dst_unused:UNUSED_PAD src0_sel:DWORD src1_sel:WORD_1
	v_fma_f16 v25, v34, v2, -v1
	s_waitcnt lgkmcnt(8)
	v_mul_f16_sdwa v1, v36, v3 dst_sel:DWORD dst_unused:UNUSED_PAD src0_sel:DWORD src1_sel:WORD_1
	v_fma_f16 v46, v26, v3, v1
	v_mul_f16_sdwa v1, v26, v3 dst_sel:DWORD dst_unused:UNUSED_PAD src0_sel:DWORD src1_sel:WORD_1
	v_fma_f16 v26, v36, v3, -v1
	global_load_dwordx4 v[34:37], v42, s[8:9] offset:32
	s_waitcnt vmcnt(0) lgkmcnt(6)
	v_mul_f16_sdwa v1, v31, v34 dst_sel:DWORD dst_unused:UNUSED_PAD src0_sel:DWORD src1_sel:WORD_1
	v_fma_f16 v47, v19, v34, v1
	v_mul_f16_sdwa v1, v19, v34 dst_sel:DWORD dst_unused:UNUSED_PAD src0_sel:DWORD src1_sel:WORD_1
	v_fma_f16 v19, v31, v34, -v1
	s_waitcnt lgkmcnt(5)
	v_mul_f16_sdwa v1, v32, v35 dst_sel:DWORD dst_unused:UNUSED_PAD src0_sel:DWORD src1_sel:WORD_1
	v_fma_f16 v31, v20, v35, v1
	v_mul_f16_sdwa v1, v20, v35 dst_sel:DWORD dst_unused:UNUSED_PAD src0_sel:DWORD src1_sel:WORD_1
	v_fma_f16 v20, v32, v35, -v1
	s_waitcnt lgkmcnt(4)
	;; [unrolled: 5-line block ×3, first 2 shown]
	v_mul_f16_sdwa v1, v30, v37 dst_sel:DWORD dst_unused:UNUSED_PAD src0_sel:DWORD src1_sel:WORD_1
	v_fma_f16 v33, v21, v37, v1
	v_mul_f16_sdwa v1, v21, v37 dst_sel:DWORD dst_unused:UNUSED_PAD src0_sel:DWORD src1_sel:WORD_1
	v_fma_f16 v21, v30, v37, -v1
	global_load_dwordx3 v[1:3], v42, s[8:9] offset:48
	v_sub_f16_e32 v19, v41, v19
	v_sub_f16_e32 v32, v45, v32
	;; [unrolled: 1-line block ×3, first 2 shown]
	v_fma_f16 v37, v45, 2.0, -v32
	v_fma_f16 v35, v41, 2.0, -v19
	s_waitcnt vmcnt(0) lgkmcnt(0)
	s_barrier
	v_mul_f16_sdwa v30, v28, v1 dst_sel:DWORD dst_unused:UNUSED_PAD src0_sel:DWORD src1_sel:WORD_1
	v_fma_f16 v30, v17, v1, v30
	v_mul_f16_sdwa v17, v17, v1 dst_sel:DWORD dst_unused:UNUSED_PAD src0_sel:DWORD src1_sel:WORD_1
	v_fma_f16 v17, v28, v1, -v17
	v_mul_f16_sdwa v1, v27, v2 dst_sel:DWORD dst_unused:UNUSED_PAD src0_sel:DWORD src1_sel:WORD_1
	v_fma_f16 v28, v16, v2, v1
	v_mul_f16_sdwa v1, v16, v2 dst_sel:DWORD dst_unused:UNUSED_PAD src0_sel:DWORD src1_sel:WORD_1
	v_fma_f16 v16, v27, v2, -v1
	;; [unrolled: 4-line block ×3, first 2 shown]
	v_sub_f16_e32 v2, v18, v33
	v_sub_f16_e32 v14, v15, v21
	;; [unrolled: 1-line block ×8, first 2 shown]
	v_fma_f16 v3, v38, 2.0, -v31
	v_fma_f16 v25, v25, 2.0, -v16
	;; [unrolled: 1-line block ×3, first 2 shown]
	v_sub_f16_e32 v17, v24, v17
	v_fma_f16 v29, v29, 2.0, -v30
	v_fma_f16 v38, v39, 2.0, -v36
	v_sub_f16_e32 v23, v26, v23
	v_fma_f16 v39, v46, 2.0, -v27
	v_sub_f16_e32 v30, v19, v30
	v_sub_f16_e32 v27, v36, v27
	;; [unrolled: 1-line block ×3, first 2 shown]
	v_fma_f16 v24, v24, 2.0, -v17
	v_fma_f16 v26, v26, 2.0, -v23
	v_sub_f16_e32 v22, v3, v25
	v_add_f16_e32 v25, v21, v16
	v_sub_f16_e32 v41, v34, v29
	v_add_f16_e32 v17, v33, v17
	v_fma_f16 v19, v19, 2.0, -v30
	v_sub_f16_e32 v39, v37, v39
	v_add_f16_e32 v43, v32, v23
	v_fma_f16 v36, v36, 2.0, -v27
	v_fma_f16 v20, v40, 2.0, -v28
	v_sub_f16_e32 v28, v31, v28
	v_fma_f16 v40, v21, 2.0, -v25
	v_sub_f16_e32 v42, v35, v24
	v_fma_f16 v16, v34, 2.0, -v41
	v_fma_f16 v34, v33, 2.0, -v17
	v_sub_f16_e32 v26, v38, v26
	v_fma_f16 v24, v37, 2.0, -v39
	v_fma_f16 v32, v32, 2.0, -v43
	v_mul_f16_e32 v29, 0x39a8, v25
	v_fma_f16 v25, v36, s5, v19
	v_fma_f16 v1, v44, 2.0, -v21
	v_fma_f16 v31, v31, 2.0, -v28
	;; [unrolled: 1-line block ×4, first 2 shown]
	v_sub_f16_e32 v23, v16, v24
	v_fma_f16 v24, v32, s5, v34
	v_fma_f16 v25, v32, s5, v25
	v_mul_f16_e32 v37, 0x39a8, v31
	v_mul_f16_e32 v33, 0x39a8, v28
	v_sub_f16_e32 v31, v21, v38
	v_fma_f16 v24, v36, s4, v24
	v_fma_f16 v36, v19, 2.0, -v25
	v_add_f16_e32 v19, v41, v26
	v_sub_f16_e32 v28, v42, v39
	v_fma_f16 v26, v43, s4, v17
	v_fma_f16 v38, v27, s4, v30
	v_fma_f16 v32, v34, 2.0, -v24
	v_fma_f16 v34, v41, 2.0, -v19
	;; [unrolled: 1-line block ×3, first 2 shown]
	v_fma_f16 v26, v27, s4, v26
	v_fma_f16 v27, v43, s5, v38
	v_sub_f16_e32 v20, v1, v20
	v_mul_f16_e32 v35, 0x39a8, v40
	v_fma_f16 v38, v17, 2.0, -v26
	v_fma_f16 v39, v30, 2.0, -v27
	v_mul_f16_e32 v40, 0x39a8, v34
	v_mul_f16_e32 v41, 0x39a8, v41
	;; [unrolled: 1-line block ×4, first 2 shown]
	v_lshlrev_b32_e32 v28, 4, v0
	s_and_saveexec_b64 s[4:5], s[0:1]
	s_cbranch_execz .LBB0_23
; %bb.22:
	v_mul_f16_sdwa v17, v12, v4 dst_sel:DWORD dst_unused:UNUSED_PAD src0_sel:DWORD src1_sel:WORD_1
	v_fma_f16 v17, v8, v4, v17
	v_sub_f16_e32 v17, v10, v17
	v_add_f16_e32 v19, v17, v14
	v_add_f16_e32 v42, v19, v29
	;; [unrolled: 1-line block ×3, first 2 shown]
	v_fma_f16 v43, v19, 2.0, -v42
	v_fma_f16 v19, v17, 2.0, -v19
	;; [unrolled: 1-line block ×4, first 2 shown]
	v_sub_f16_e32 v45, v19, v35
	v_sub_f16_e32 v17, v10, v17
	s_mov_b32 s6, 0xb61f
	v_add_f16_e32 v45, v37, v45
	s_movk_i32 s7, 0x361f
	v_fma_f16 v10, v10, 2.0, -v17
	v_fma_f16 v1, v1, 2.0, -v20
	v_fma_f16 v44, v38, s6, v43
	s_movk_i32 s6, 0x3b64
	v_fma_f16 v46, v24, s7, v45
	v_add_f16_e32 v18, v17, v22
	v_sub_f16_e32 v1, v10, v1
	v_fma_f16 v44, v39, s6, v44
	v_fma_f16 v46, v25, s6, v46
	;; [unrolled: 1-line block ×3, first 2 shown]
	v_add_f16_e32 v48, v18, v30
	v_fma_f16 v50, v17, 2.0, -v18
	v_add_f16_e32 v17, v1, v31
	v_fma_f16 v19, v19, 2.0, -v45
	s_mov_b32 s6, 0xbb64
	v_add_f16_e32 v48, v34, v48
	v_fma_f16 v49, v45, 2.0, -v46
	v_fma_f16 v52, v1, 2.0, -v17
	v_fma_f16 v45, v32, s6, v19
	v_fma_f16 v1, v10, 2.0, -v1
	v_fma_f16 v10, v16, 2.0, -v23
	s_movk_i32 s6, 0x700
	v_sub_f16_e32 v51, v50, v40
	v_sub_f16_e32 v10, v1, v10
	v_fma_f16 v16, v18, 2.0, -v48
	v_and_or_b32 v18, v28, s6, v13
	v_fma_f16 v47, v27, s7, v47
	v_add_f16_e32 v51, v41, v51
	v_fma_f16 v45, v36, s7, v45
	v_fma_f16 v1, v1, 2.0, -v10
	v_lshl_add_u32 v18, v18, 1, 0
	v_fma_f16 v42, v42, 2.0, -v47
	v_fma_f16 v43, v43, 2.0, -v44
	;; [unrolled: 1-line block ×4, first 2 shown]
	ds_write_b16 v18, v1
	ds_write_b16 v18, v19 offset:32
	ds_write_b16 v18, v50 offset:64
	;; [unrolled: 1-line block ×15, first 2 shown]
.LBB0_23:
	s_or_b64 exec, exec, s[4:5]
	s_waitcnt lgkmcnt(0)
	s_barrier
	ds_read_u16 v1, v7
	ds_read_u16 v10, v7 offset:512
	ds_read_u16 v18, v7 offset:1024
	;; [unrolled: 1-line block ×5, first 2 shown]
	s_waitcnt lgkmcnt(0)
	s_barrier
	s_and_saveexec_b64 s[4:5], s[0:1]
	s_cbranch_execz .LBB0_25
; %bb.24:
	v_mul_f16_sdwa v8, v8, v4 dst_sel:DWORD dst_unused:UNUSED_PAD src0_sel:DWORD src1_sel:WORD_1
	v_fma_f16 v4, v12, v4, -v8
	v_sub_f16_e32 v4, v11, v4
	v_sub_f16_e32 v2, v4, v2
	v_fma_f16 v8, v11, 2.0, -v4
	v_fma_f16 v11, v15, 2.0, -v14
	;; [unrolled: 1-line block ×3, first 2 shown]
	v_add_f16_e32 v15, v2, v33
	v_sub_f16_e32 v12, v4, v37
	v_sub_f16_e32 v15, v15, v29
	;; [unrolled: 1-line block ×4, first 2 shown]
	v_fma_f16 v2, v2, 2.0, -v15
	s_mov_b32 s1, 0xb61f
	s_movk_i32 s6, 0x361f
	v_fma_f16 v8, v8, 2.0, -v11
	v_fma_f16 v3, v3, 2.0, -v22
	;; [unrolled: 1-line block ×3, first 2 shown]
	s_mov_b32 s0, 0xbb64
	v_fma_f16 v29, v39, s1, v2
	v_fma_f16 v25, v25, s6, v12
	v_sub_f16_e32 v3, v8, v3
	v_sub_f16_e32 v14, v11, v20
	v_fma_f16 v20, v21, 2.0, -v31
	v_fma_f16 v21, v36, s0, v4
	v_fma_f16 v29, v38, s0, v29
	;; [unrolled: 1-line block ×3, first 2 shown]
	s_movk_i32 s0, 0x3b64
	v_fma_f16 v8, v8, 2.0, -v3
	v_fma_f16 v11, v11, 2.0, -v14
	v_fma_f16 v27, v27, s0, v15
	s_movk_i32 s0, 0x700
	v_sub_f16_e32 v20, v8, v20
	v_sub_f16_e32 v22, v11, v41
	v_add_f16_e32 v25, v14, v34
	v_and_or_b32 v13, v28, s0, v13
	v_fma_f16 v8, v8, 2.0, -v20
	v_fma_f16 v21, v32, s1, v21
	v_sub_f16_e32 v22, v22, v40
	v_sub_f16_e32 v23, v3, v23
	;; [unrolled: 1-line block ×3, first 2 shown]
	v_fma_f16 v26, v26, s1, v27
	v_lshl_add_u32 v13, v13, 1, 0
	v_fma_f16 v4, v4, 2.0, -v21
	v_fma_f16 v11, v11, 2.0, -v22
	;; [unrolled: 1-line block ×7, first 2 shown]
	ds_write_b16 v13, v8
	ds_write_b16 v13, v4 offset:32
	ds_write_b16 v13, v11 offset:64
	;; [unrolled: 1-line block ×15, first 2 shown]
.LBB0_25:
	s_or_b64 exec, exec, s[4:5]
	s_waitcnt lgkmcnt(0)
	s_barrier
	s_and_saveexec_b64 s[0:1], vcc
	s_cbranch_execz .LBB0_27
; %bb.26:
	v_mul_u32_u24_e32 v0, 5, v0
	v_lshlrev_b32_e32 v0, 2, v0
	global_load_dwordx4 v[11:14], v0, s[8:9] offset:960
	global_load_dword v8, v0, s[8:9] offset:976
	v_mad_u64_u32 v[2:3], s[0:1], s2, v9, 0
	ds_read_u16 v15, v7
	ds_read_u16 v20, v7 offset:2560
	ds_read_u16 v21, v7 offset:2048
	;; [unrolled: 1-line block ×5, first 2 shown]
	v_mov_b32_e32 v0, v3
	v_mad_u64_u32 v[3:4], s[0:1], s3, v9, v[0:1]
	s_mov_b32 s4, 0xbaee
	s_movk_i32 s0, 0x3aee
	v_lshlrev_b64 v[4:5], 2, v[5:6]
	v_lshlrev_b64 v[2:3], 2, v[2:3]
	v_mov_b32_e32 v6, s13
	s_waitcnt vmcnt(1)
	v_lshrrev_b32_e32 v24, 16, v13
	s_waitcnt vmcnt(0)
	v_lshrrev_b32_e32 v31, 16, v8
	v_lshrrev_b32_e32 v0, 16, v11
	v_mul_f16_sdwa v25, v18, v12 dst_sel:DWORD dst_unused:UNUSED_PAD src0_sel:DWORD src1_sel:WORD_1
	v_mul_f16_sdwa v26, v19, v14 dst_sel:DWORD dst_unused:UNUSED_PAD src0_sel:DWORD src1_sel:WORD_1
	s_waitcnt lgkmcnt(1)
	v_mul_f16_sdwa v27, v23, v12 dst_sel:DWORD dst_unused:UNUSED_PAD src0_sel:DWORD src1_sel:WORD_1
	v_mul_f16_sdwa v28, v21, v14 dst_sel:DWORD dst_unused:UNUSED_PAD src0_sel:DWORD src1_sel:WORD_1
	v_mul_f16_e32 v29, v10, v11
	v_mul_f16_e32 v30, v16, v13
	;; [unrolled: 1-line block ×5, first 2 shown]
	v_fma_f16 v23, v23, v12, -v25
	v_fma_f16 v21, v21, v14, -v26
	v_fma_f16 v12, v18, v12, v27
	v_fma_f16 v14, v19, v14, v28
	s_waitcnt lgkmcnt(0)
	v_fma_f16 v18, v7, v0, v29
	v_fma_f16 v19, v22, v24, v30
	;; [unrolled: 1-line block ×3, first 2 shown]
	v_mul_f16_e32 v0, v10, v0
	v_fma_f16 v13, v22, v13, -v16
	v_fma_f16 v8, v20, v8, -v17
	v_add_f16_e32 v10, v23, v21
	v_sub_f16_e32 v24, v12, v14
	v_add_f16_e32 v26, v19, v25
	v_fma_f16 v0, v7, v11, -v0
	v_sub_f16_e32 v7, v19, v25
	v_add_f16_e32 v16, v12, v14
	v_add_f16_e32 v12, v1, v12
	;; [unrolled: 1-line block ×5, first 2 shown]
	v_sub_f16_e32 v17, v23, v21
	v_fma_f16 v10, v10, -0.5, v15
	v_fma_f16 v15, v26, -0.5, v18
	v_sub_f16_e32 v18, v13, v8
	v_add_f16_e32 v13, v0, v13
	v_fma_f16 v1, v16, -0.5, v1
	v_add_f16_e32 v12, v12, v14
	v_add_f16_e32 v14, v19, v25
	v_fma_f16 v0, v20, -0.5, v0
	v_add_f16_e32 v11, v11, v21
	v_add_f16_e32 v8, v13, v8
	v_fma_f16 v13, v17, s0, v1
	v_fma_f16 v1, v17, s4, v1
	v_sub_f16_e32 v17, v12, v14
	v_add_f16_e32 v12, v12, v14
	v_fma_f16 v14, v7, s4, v0
	v_fma_f16 v19, v18, s0, v15
	;; [unrolled: 1-line block ×3, first 2 shown]
	v_sub_f16_e32 v7, v11, v8
	v_add_f16_e32 v8, v11, v8
	v_mul_f16_e32 v11, -0.5, v14
	v_fma_f16 v16, v24, s4, v10
	v_fma_f16 v15, v18, s4, v15
	v_mul_f16_e32 v18, 0.5, v0
	v_mul_f16_e32 v14, 0xbaee, v14
	v_mul_f16_e32 v0, 0xbaee, v0
	v_fma_f16 v11, v19, s0, v11
	v_fma_f16 v18, v15, s0, v18
	v_fma_f16 v14, v19, -0.5, v14
	v_fma_f16 v0, v15, 0.5, v0
	v_sub_f16_e32 v15, v16, v11
	v_add_f16_e32 v11, v16, v11
	v_or_b32_e32 v16, 0x100, v9
	v_fma_f16 v10, v24, s0, v10
	v_sub_f16_e32 v20, v13, v14
	v_sub_f16_e32 v21, v1, v0
	v_add_f16_e32 v13, v13, v14
	v_add_f16_e32 v14, v1, v0
	v_mad_u64_u32 v[0:1], s[0:1], s2, v16, 0
	v_sub_f16_e32 v19, v10, v18
	v_add_f16_e32 v10, v10, v18
	v_add_co_u32_e32 v18, vcc, s12, v4
	v_addc_co_u32_e32 v6, vcc, v6, v5, vcc
	v_mad_u64_u32 v[4:5], s[0:1], s3, v16, v[1:2]
	v_add_co_u32_e32 v1, vcc, v18, v2
	v_addc_co_u32_e32 v2, vcc, v6, v3, vcc
	v_pack_b32_f16 v3, v12, v8
	global_store_dword v[1:2], v3, off
	v_mov_b32_e32 v1, v4
	v_or_b32_e32 v4, 0x200, v9
	v_mad_u64_u32 v[2:3], s[0:1], s2, v4, 0
	v_pack_b32_f16 v8, v14, v10
	v_or_b32_e32 v10, 0x300, v9
	v_mad_u64_u32 v[3:4], s[0:1], s3, v4, v[3:4]
	v_lshlrev_b64 v[0:1], 2, v[0:1]
	v_mad_u64_u32 v[4:5], s[0:1], s2, v10, 0
	v_add_co_u32_e32 v0, vcc, v18, v0
	v_addc_co_u32_e32 v1, vcc, v6, v1, vcc
	global_store_dword v[0:1], v8, off
	v_lshlrev_b64 v[0:1], 2, v[2:3]
	v_mov_b32_e32 v2, v5
	v_mad_u64_u32 v[2:3], s[0:1], s3, v10, v[2:3]
	v_add_co_u32_e32 v0, vcc, v18, v0
	v_addc_co_u32_e32 v1, vcc, v6, v1, vcc
	v_pack_b32_f16 v3, v13, v11
	v_mov_b32_e32 v5, v2
	global_store_dword v[0:1], v3, off
	v_lshlrev_b64 v[0:1], 2, v[4:5]
	v_or_b32_e32 v4, 0x400, v9
	v_mad_u64_u32 v[2:3], s[0:1], s2, v4, 0
	v_or_b32_e32 v8, 0x500, v9
	v_add_co_u32_e32 v0, vcc, v18, v0
	v_mad_u64_u32 v[3:4], s[0:1], s3, v4, v[3:4]
	v_mad_u64_u32 v[4:5], s[0:1], s2, v8, 0
	v_addc_co_u32_e32 v1, vcc, v6, v1, vcc
	v_pack_b32_f16 v7, v17, v7
	global_store_dword v[0:1], v7, off
	v_lshlrev_b64 v[0:1], 2, v[2:3]
	v_mov_b32_e32 v2, v5
	v_mad_u64_u32 v[2:3], s[0:1], s3, v8, v[2:3]
	v_add_co_u32_e32 v0, vcc, v18, v0
	v_addc_co_u32_e32 v1, vcc, v6, v1, vcc
	v_pack_b32_f16 v3, v21, v19
	v_mov_b32_e32 v5, v2
	global_store_dword v[0:1], v3, off
	v_lshlrev_b64 v[0:1], 2, v[4:5]
	v_pack_b32_f16 v2, v20, v15
	v_add_co_u32_e32 v0, vcc, v18, v0
	v_addc_co_u32_e32 v1, vcc, v6, v1, vcc
	global_store_dword v[0:1], v2, off
.LBB0_27:
	s_endpgm
	.section	.rodata,"a",@progbits
	.p2align	6, 0x0
	.amdhsa_kernel fft_rtc_back_len1536_factors_16_16_6_wgs_256_tpt_256_halfLds_half_ip_CI_sbrr_dirReg
		.amdhsa_group_segment_fixed_size 0
		.amdhsa_private_segment_fixed_size 0
		.amdhsa_kernarg_size 88
		.amdhsa_user_sgpr_count 6
		.amdhsa_user_sgpr_private_segment_buffer 1
		.amdhsa_user_sgpr_dispatch_ptr 0
		.amdhsa_user_sgpr_queue_ptr 0
		.amdhsa_user_sgpr_kernarg_segment_ptr 1
		.amdhsa_user_sgpr_dispatch_id 0
		.amdhsa_user_sgpr_flat_scratch_init 0
		.amdhsa_user_sgpr_private_segment_size 0
		.amdhsa_uses_dynamic_stack 0
		.amdhsa_system_sgpr_private_segment_wavefront_offset 0
		.amdhsa_system_sgpr_workgroup_id_x 1
		.amdhsa_system_sgpr_workgroup_id_y 0
		.amdhsa_system_sgpr_workgroup_id_z 0
		.amdhsa_system_sgpr_workgroup_info 0
		.amdhsa_system_vgpr_workitem_id 0
		.amdhsa_next_free_vgpr 54
		.amdhsa_next_free_sgpr 24
		.amdhsa_reserve_vcc 1
		.amdhsa_reserve_flat_scratch 0
		.amdhsa_float_round_mode_32 0
		.amdhsa_float_round_mode_16_64 0
		.amdhsa_float_denorm_mode_32 3
		.amdhsa_float_denorm_mode_16_64 3
		.amdhsa_dx10_clamp 1
		.amdhsa_ieee_mode 1
		.amdhsa_fp16_overflow 0
		.amdhsa_exception_fp_ieee_invalid_op 0
		.amdhsa_exception_fp_denorm_src 0
		.amdhsa_exception_fp_ieee_div_zero 0
		.amdhsa_exception_fp_ieee_overflow 0
		.amdhsa_exception_fp_ieee_underflow 0
		.amdhsa_exception_fp_ieee_inexact 0
		.amdhsa_exception_int_div_zero 0
	.end_amdhsa_kernel
	.text
.Lfunc_end0:
	.size	fft_rtc_back_len1536_factors_16_16_6_wgs_256_tpt_256_halfLds_half_ip_CI_sbrr_dirReg, .Lfunc_end0-fft_rtc_back_len1536_factors_16_16_6_wgs_256_tpt_256_halfLds_half_ip_CI_sbrr_dirReg
                                        ; -- End function
	.section	.AMDGPU.csdata,"",@progbits
; Kernel info:
; codeLenInByte = 6988
; NumSgprs: 28
; NumVgprs: 54
; ScratchSize: 0
; MemoryBound: 0
; FloatMode: 240
; IeeeMode: 1
; LDSByteSize: 0 bytes/workgroup (compile time only)
; SGPRBlocks: 3
; VGPRBlocks: 13
; NumSGPRsForWavesPerEU: 28
; NumVGPRsForWavesPerEU: 54
; Occupancy: 4
; WaveLimiterHint : 1
; COMPUTE_PGM_RSRC2:SCRATCH_EN: 0
; COMPUTE_PGM_RSRC2:USER_SGPR: 6
; COMPUTE_PGM_RSRC2:TRAP_HANDLER: 0
; COMPUTE_PGM_RSRC2:TGID_X_EN: 1
; COMPUTE_PGM_RSRC2:TGID_Y_EN: 0
; COMPUTE_PGM_RSRC2:TGID_Z_EN: 0
; COMPUTE_PGM_RSRC2:TIDIG_COMP_CNT: 0
	.type	__hip_cuid_cacd3e4e25c78483,@object ; @__hip_cuid_cacd3e4e25c78483
	.section	.bss,"aw",@nobits
	.globl	__hip_cuid_cacd3e4e25c78483
__hip_cuid_cacd3e4e25c78483:
	.byte	0                               ; 0x0
	.size	__hip_cuid_cacd3e4e25c78483, 1

	.ident	"AMD clang version 19.0.0git (https://github.com/RadeonOpenCompute/llvm-project roc-6.4.0 25133 c7fe45cf4b819c5991fe208aaa96edf142730f1d)"
	.section	".note.GNU-stack","",@progbits
	.addrsig
	.addrsig_sym __hip_cuid_cacd3e4e25c78483
	.amdgpu_metadata
---
amdhsa.kernels:
  - .args:
      - .actual_access:  read_only
        .address_space:  global
        .offset:         0
        .size:           8
        .value_kind:     global_buffer
      - .offset:         8
        .size:           8
        .value_kind:     by_value
      - .actual_access:  read_only
        .address_space:  global
        .offset:         16
        .size:           8
        .value_kind:     global_buffer
      - .actual_access:  read_only
        .address_space:  global
        .offset:         24
        .size:           8
        .value_kind:     global_buffer
      - .offset:         32
        .size:           8
        .value_kind:     by_value
      - .actual_access:  read_only
        .address_space:  global
        .offset:         40
        .size:           8
        .value_kind:     global_buffer
      - .actual_access:  read_only
        .address_space:  global
        .offset:         48
        .size:           8
        .value_kind:     global_buffer
      - .offset:         56
        .size:           4
        .value_kind:     by_value
      - .actual_access:  read_only
        .address_space:  global
        .offset:         64
        .size:           8
        .value_kind:     global_buffer
      - .actual_access:  read_only
        .address_space:  global
        .offset:         72
        .size:           8
        .value_kind:     global_buffer
      - .address_space:  global
        .offset:         80
        .size:           8
        .value_kind:     global_buffer
    .group_segment_fixed_size: 0
    .kernarg_segment_align: 8
    .kernarg_segment_size: 88
    .language:       OpenCL C
    .language_version:
      - 2
      - 0
    .max_flat_workgroup_size: 256
    .name:           fft_rtc_back_len1536_factors_16_16_6_wgs_256_tpt_256_halfLds_half_ip_CI_sbrr_dirReg
    .private_segment_fixed_size: 0
    .sgpr_count:     28
    .sgpr_spill_count: 0
    .symbol:         fft_rtc_back_len1536_factors_16_16_6_wgs_256_tpt_256_halfLds_half_ip_CI_sbrr_dirReg.kd
    .uniform_work_group_size: 1
    .uses_dynamic_stack: false
    .vgpr_count:     54
    .vgpr_spill_count: 0
    .wavefront_size: 64
amdhsa.target:   amdgcn-amd-amdhsa--gfx906
amdhsa.version:
  - 1
  - 2
...

	.end_amdgpu_metadata
